;; amdgpu-corpus repo=ROCm/rocFFT kind=compiled arch=gfx906 opt=O3
	.text
	.amdgcn_target "amdgcn-amd-amdhsa--gfx906"
	.amdhsa_code_object_version 6
	.protected	fft_rtc_back_len125_factors_5_5_5_wgs_400_tpt_25_half_op_CI_CI_sbcc_twdbase5_3step_dirReg_intrinsicReadWrite ; -- Begin function fft_rtc_back_len125_factors_5_5_5_wgs_400_tpt_25_half_op_CI_CI_sbcc_twdbase5_3step_dirReg_intrinsicReadWrite
	.globl	fft_rtc_back_len125_factors_5_5_5_wgs_400_tpt_25_half_op_CI_CI_sbcc_twdbase5_3step_dirReg_intrinsicReadWrite
	.p2align	8
	.type	fft_rtc_back_len125_factors_5_5_5_wgs_400_tpt_25_half_op_CI_CI_sbcc_twdbase5_3step_dirReg_intrinsicReadWrite,@function
fft_rtc_back_len125_factors_5_5_5_wgs_400_tpt_25_half_op_CI_CI_sbcc_twdbase5_3step_dirReg_intrinsicReadWrite: ; @fft_rtc_back_len125_factors_5_5_5_wgs_400_tpt_25_half_op_CI_CI_sbcc_twdbase5_3step_dirReg_intrinsicReadWrite
; %bb.0:
	s_load_dwordx8 s[8:15], s[4:5], 0x8
	s_load_dwordx2 s[28:29], s[4:5], 0x28
	s_movk_i32 s0, 0x60
	v_cmp_gt_u32_e32 vcc, s0, v0
	s_and_saveexec_b64 s[0:1], vcc
	s_cbranch_execz .LBB0_2
; %bb.1:
	v_lshlrev_b32_e32 v1, 2, v0
	s_waitcnt lgkmcnt(0)
	global_load_dword v2, v1, s[8:9]
	v_add_u32_e32 v1, 0, v1
	s_waitcnt vmcnt(0)
	ds_write_b32 v1, v2 offset:8000
.LBB0_2:
	s_or_b64 exec, exec, s[0:1]
	s_waitcnt lgkmcnt(0)
	s_load_dwordx2 s[2:3], s[12:13], 0x8
	s_mov_b32 s7, 0
	s_mov_b64 s[34:35], 0
	s_waitcnt lgkmcnt(0)
	s_add_u32 s0, s2, -1
	s_addc_u32 s1, s3, -1
	s_lshr_b64 s[0:1], s[0:1], 4
	s_add_u32 s30, s0, 1
	s_addc_u32 s31, s1, 0
	v_mov_b32_e32 v1, s30
	v_mov_b32_e32 v2, s31
	v_cmp_lt_u64_e32 vcc, s[6:7], v[1:2]
	s_cbranch_vccnz .LBB0_4
; %bb.3:
	v_cvt_f32_u32_e32 v1, s30
	s_sub_i32 s0, 0, s30
	s_mov_b32 s35, s7
	v_rcp_iflag_f32_e32 v1, v1
	v_mul_f32_e32 v1, 0x4f7ffffe, v1
	v_cvt_u32_f32_e32 v1, v1
	v_readfirstlane_b32 s1, v1
	s_mul_i32 s0, s0, s1
	s_mul_hi_u32 s0, s1, s0
	s_add_i32 s1, s1, s0
	s_mul_hi_u32 s0, s6, s1
	s_mul_i32 s8, s0, s30
	s_sub_i32 s8, s6, s8
	s_add_i32 s1, s0, 1
	s_sub_i32 s9, s8, s30
	s_cmp_ge_u32 s8, s30
	s_cselect_b32 s0, s1, s0
	s_cselect_b32 s8, s9, s8
	s_add_i32 s1, s0, 1
	s_cmp_ge_u32 s8, s30
	s_cselect_b32 s34, s1, s0
.LBB0_4:
	s_load_dwordx4 s[20:23], s[4:5], 0x60
	s_load_dwordx2 s[8:9], s[4:5], 0x0
	s_load_dwordx4 s[24:27], s[14:15], 0x0
	s_mul_i32 s0, s34, s31
	s_mul_hi_u32 s1, s34, s30
	s_add_i32 s1, s1, s0
	s_mul_i32 s0, s34, s30
	s_sub_u32 s0, s6, s0
	s_subb_u32 s1, 0, s1
	v_mov_b32_e32 v1, s0
	s_load_dwordx4 s[16:19], s[28:29], 0x0
	v_alignbit_b32 v1, s1, v1, 28
	s_waitcnt lgkmcnt(0)
	v_mul_lo_u32 v2, s26, v1
	s_lshl_b64 s[4:5], s[0:1], 4
	s_mul_hi_u32 s0, s26, s4
	v_mul_lo_u32 v1, s18, v1
	v_add_u32_e32 v2, s0, v2
	s_mul_i32 s0, s27, s4
	v_add_u32_e32 v5, s0, v2
	s_mul_i32 s0, s26, s4
	v_mov_b32_e32 v3, s0
	s_mul_hi_u32 s0, s18, s4
	v_add_u32_e32 v1, s0, v1
	s_mul_i32 s0, s19, s4
	v_add_u32_e32 v6, s0, v1
	v_cmp_lt_u64_e64 s[0:1], s[10:11], 3
	s_mul_i32 s17, s18, s4
	v_mov_b32_e32 v4, s17
	s_and_b64 vcc, exec, s[0:1]
	s_cbranch_vccnz .LBB0_13
; %bb.5:
	s_add_u32 s36, s28, 16
	s_addc_u32 s37, s29, 0
	s_add_u32 s38, s14, 16
	s_addc_u32 s39, s15, 0
	s_add_u32 s12, s12, 16
	v_mov_b32_e32 v1, s10
	s_addc_u32 s13, s13, 0
	s_mov_b64 s[40:41], 2
	s_mov_b32 s42, 0
	v_mov_b32_e32 v2, s11
	s_branch .LBB0_7
.LBB0_6:                                ;   in Loop: Header=BB0_7 Depth=1
	s_mul_i32 s17, s44, s31
	s_mul_hi_u32 s19, s44, s30
	s_add_i32 s17, s19, s17
	s_mul_i32 s19, s45, s30
	s_add_i32 s31, s17, s19
	s_mul_i32 s17, s0, s45
	s_mul_hi_u32 s19, s0, s44
	s_add_i32 s17, s19, s17
	s_mul_i32 s19, s1, s44
	s_load_dwordx2 s[46:47], s[38:39], 0x0
	s_add_i32 s17, s17, s19
	s_mul_i32 s19, s0, s44
	s_sub_u32 s19, s34, s19
	s_subb_u32 s17, s35, s17
	s_load_dwordx2 s[34:35], s[36:37], 0x0
	s_waitcnt lgkmcnt(0)
	s_mul_i32 s25, s46, s17
	s_mul_hi_u32 s27, s46, s19
	s_add_i32 s25, s27, s25
	s_mul_i32 s27, s47, s19
	s_add_i32 s25, s25, s27
	v_mov_b32_e32 v7, s25
	s_mul_i32 s17, s34, s17
	s_mul_hi_u32 s25, s34, s19
	s_add_i32 s17, s25, s17
	s_mul_i32 s25, s35, s19
	s_add_i32 s17, s17, s25
	s_mul_i32 s27, s46, s19
	s_add_u32 s40, s40, 1
	v_add_co_u32_e32 v3, vcc, s27, v3
	s_addc_u32 s41, s41, 0
	v_addc_co_u32_e32 v5, vcc, v7, v5, vcc
	s_mul_i32 s19, s34, s19
	s_add_u32 s36, s36, 8
	v_mov_b32_e32 v7, s17
	v_add_co_u32_e32 v4, vcc, s19, v4
	s_addc_u32 s37, s37, 0
	v_addc_co_u32_e32 v6, vcc, v7, v6, vcc
	s_add_u32 s38, s38, 8
	s_addc_u32 s39, s39, 0
	v_cmp_ge_u64_e32 vcc, s[40:41], v[1:2]
	s_add_u32 s12, s12, 8
	s_mul_i32 s30, s44, s30
	s_addc_u32 s13, s13, 0
	s_mov_b64 s[34:35], s[0:1]
	s_cbranch_vccnz .LBB0_11
.LBB0_7:                                ; =>This Inner Loop Header: Depth=1
	s_load_dwordx2 s[44:45], s[12:13], 0x0
	s_waitcnt lgkmcnt(0)
	s_or_b64 s[0:1], s[34:35], s[44:45]
	s_mov_b32 s43, s1
	s_cmp_lg_u64 s[42:43], 0
	s_cbranch_scc0 .LBB0_9
; %bb.8:                                ;   in Loop: Header=BB0_7 Depth=1
	v_cvt_f32_u32_e32 v7, s44
	v_cvt_f32_u32_e32 v8, s45
	s_sub_u32 s0, 0, s44
	s_subb_u32 s1, 0, s45
	v_mac_f32_e32 v7, 0x4f800000, v8
	v_rcp_f32_e32 v7, v7
	v_mul_f32_e32 v7, 0x5f7ffffc, v7
	v_mul_f32_e32 v8, 0x2f800000, v7
	v_trunc_f32_e32 v8, v8
	v_mac_f32_e32 v7, 0xcf800000, v8
	v_cvt_u32_f32_e32 v8, v8
	v_cvt_u32_f32_e32 v7, v7
	v_readfirstlane_b32 s17, v8
	v_readfirstlane_b32 s19, v7
	s_mul_i32 s25, s0, s17
	s_mul_hi_u32 s33, s0, s19
	s_mul_i32 s27, s1, s19
	s_add_i32 s25, s33, s25
	s_mul_i32 s43, s0, s19
	s_add_i32 s25, s25, s27
	s_mul_hi_u32 s27, s19, s25
	s_mul_i32 s33, s19, s25
	s_mul_hi_u32 s19, s19, s43
	s_add_u32 s19, s19, s33
	s_addc_u32 s27, 0, s27
	s_mul_hi_u32 s46, s17, s43
	s_mul_i32 s43, s17, s43
	s_add_u32 s19, s19, s43
	s_mul_hi_u32 s33, s17, s25
	s_addc_u32 s19, s27, s46
	s_addc_u32 s27, s33, 0
	s_mul_i32 s25, s17, s25
	s_add_u32 s19, s19, s25
	s_addc_u32 s25, 0, s27
	v_add_co_u32_e32 v7, vcc, s19, v7
	s_cmp_lg_u64 vcc, 0
	s_addc_u32 s17, s17, s25
	v_readfirstlane_b32 s25, v7
	s_mul_i32 s19, s0, s17
	s_mul_hi_u32 s27, s0, s25
	s_add_i32 s19, s27, s19
	s_mul_i32 s1, s1, s25
	s_add_i32 s19, s19, s1
	s_mul_i32 s0, s0, s25
	s_mul_hi_u32 s27, s17, s0
	s_mul_i32 s33, s17, s0
	s_mul_i32 s46, s25, s19
	s_mul_hi_u32 s0, s25, s0
	s_mul_hi_u32 s43, s25, s19
	s_add_u32 s0, s0, s46
	s_addc_u32 s25, 0, s43
	s_add_u32 s0, s0, s33
	s_mul_hi_u32 s1, s17, s19
	s_addc_u32 s0, s25, s27
	s_addc_u32 s1, s1, 0
	s_mul_i32 s19, s17, s19
	s_add_u32 s0, s0, s19
	s_addc_u32 s1, 0, s1
	v_add_co_u32_e32 v7, vcc, s0, v7
	s_cmp_lg_u64 vcc, 0
	s_addc_u32 s0, s17, s1
	v_readfirstlane_b32 s19, v7
	s_mul_i32 s17, s34, s0
	s_mul_hi_u32 s25, s34, s19
	s_mul_hi_u32 s1, s34, s0
	s_add_u32 s17, s25, s17
	s_addc_u32 s1, 0, s1
	s_mul_hi_u32 s27, s35, s19
	s_mul_i32 s19, s35, s19
	s_add_u32 s17, s17, s19
	s_mul_hi_u32 s25, s35, s0
	s_addc_u32 s1, s1, s27
	s_addc_u32 s17, s25, 0
	s_mul_i32 s0, s35, s0
	s_add_u32 s19, s1, s0
	s_addc_u32 s17, 0, s17
	s_mul_i32 s0, s44, s17
	s_mul_hi_u32 s1, s44, s19
	s_add_i32 s0, s1, s0
	s_mul_i32 s1, s45, s19
	s_add_i32 s25, s0, s1
	s_mul_i32 s1, s44, s19
	v_mov_b32_e32 v7, s1
	s_sub_i32 s0, s35, s25
	v_sub_co_u32_e32 v7, vcc, s34, v7
	s_cmp_lg_u64 vcc, 0
	s_subb_u32 s27, s0, s45
	v_subrev_co_u32_e64 v8, s[0:1], s44, v7
	s_cmp_lg_u64 s[0:1], 0
	s_subb_u32 s0, s27, 0
	s_cmp_ge_u32 s0, s45
	v_readfirstlane_b32 s27, v8
	s_cselect_b32 s1, -1, 0
	s_cmp_ge_u32 s27, s44
	s_cselect_b32 s27, -1, 0
	s_cmp_eq_u32 s0, s45
	s_cselect_b32 s0, s27, s1
	s_add_u32 s1, s19, 1
	s_addc_u32 s27, s17, 0
	s_add_u32 s33, s19, 2
	s_addc_u32 s43, s17, 0
	s_cmp_lg_u32 s0, 0
	s_cselect_b32 s0, s33, s1
	s_cselect_b32 s1, s43, s27
	s_cmp_lg_u64 vcc, 0
	s_subb_u32 s25, s35, s25
	s_cmp_ge_u32 s25, s45
	v_readfirstlane_b32 s33, v7
	s_cselect_b32 s27, -1, 0
	s_cmp_ge_u32 s33, s44
	s_cselect_b32 s33, -1, 0
	s_cmp_eq_u32 s25, s45
	s_cselect_b32 s25, s33, s27
	s_cmp_lg_u32 s25, 0
	s_cselect_b32 s1, s1, s17
	s_cselect_b32 s0, s0, s19
	s_cbranch_execnz .LBB0_6
	s_branch .LBB0_10
.LBB0_9:                                ;   in Loop: Header=BB0_7 Depth=1
                                        ; implicit-def: $sgpr0_sgpr1
.LBB0_10:                               ;   in Loop: Header=BB0_7 Depth=1
	v_cvt_f32_u32_e32 v7, s44
	s_sub_i32 s0, 0, s44
	v_rcp_iflag_f32_e32 v7, v7
	v_mul_f32_e32 v7, 0x4f7ffffe, v7
	v_cvt_u32_f32_e32 v7, v7
	v_readfirstlane_b32 s1, v7
	s_mul_i32 s0, s0, s1
	s_mul_hi_u32 s0, s1, s0
	s_add_i32 s1, s1, s0
	s_mul_hi_u32 s0, s34, s1
	s_mul_i32 s17, s0, s44
	s_sub_i32 s17, s34, s17
	s_add_i32 s1, s0, 1
	s_sub_i32 s19, s17, s44
	s_cmp_ge_u32 s17, s44
	s_cselect_b32 s0, s1, s0
	s_cselect_b32 s17, s19, s17
	s_add_i32 s1, s0, 1
	s_cmp_ge_u32 s17, s44
	s_cselect_b32 s0, s1, s0
	s_mov_b32 s1, s42
	s_branch .LBB0_6
.LBB0_11:
	v_mov_b32_e32 v1, s30
	v_mov_b32_e32 v2, s31
	v_cmp_lt_u64_e32 vcc, s[6:7], v[1:2]
	s_mov_b64 s[34:35], 0
	s_cbranch_vccnz .LBB0_13
; %bb.12:
	v_cvt_f32_u32_e32 v1, s30
	s_sub_i32 s0, 0, s30
	v_rcp_iflag_f32_e32 v1, v1
	v_mul_f32_e32 v1, 0x4f7ffffe, v1
	v_cvt_u32_f32_e32 v1, v1
	v_readfirstlane_b32 s1, v1
	s_mul_i32 s0, s0, s1
	s_mul_hi_u32 s0, s1, s0
	s_add_i32 s1, s1, s0
	s_mul_hi_u32 s0, s6, s1
	s_mul_i32 s7, s0, s30
	s_sub_i32 s6, s6, s7
	s_add_i32 s1, s0, 1
	s_sub_i32 s7, s6, s30
	s_cmp_ge_u32 s6, s30
	s_cselect_b32 s0, s1, s0
	s_cselect_b32 s6, s7, s6
	s_add_i32 s1, s0, 1
	s_cmp_ge_u32 s6, s30
	s_cselect_b32 s34, s1, s0
.LBB0_13:
	s_lshl_b64 s[0:1], s[10:11], 3
	s_add_u32 s6, s14, s0
	s_addc_u32 s7, s15, s1
	s_add_u32 s0, s28, s0
	s_addc_u32 s1, s29, s1
	s_load_dword s6, s[6:7], 0x0
	v_mov_b32_e32 v6, s3
	s_load_dword s0, s[0:1], 0x0
	v_mov_b32_e32 v5, s2
	v_mov_b32_e32 v2, s5
	s_waitcnt lgkmcnt(0)
	s_mul_i32 s6, s6, s34
	v_add_u32_e32 v7, s6, v3
	s_mul_i32 s0, s0, s34
	v_add_u32_e32 v3, s0, v4
	s_add_u32 s0, s4, 16
	s_addc_u32 s1, s5, 0
	v_and_b32_e32 v4, 15, v0
	v_cmp_le_u64_e32 vcc, s[0:1], v[5:6]
	v_lshrrev_b32_e32 v5, 4, v0
	v_mul_lo_u32 v6, s26, v4
	v_mul_lo_u32 v8, s24, v5
	v_or_b32_e32 v1, s4, v4
	v_cmp_gt_u64_e64 s[0:1], s[2:3], v[1:2]
	v_lshlrev_b32_e32 v7, 2, v7
	s_or_b64 vcc, vcc, s[0:1]
	v_add_lshl_u32 v2, v6, v8, 2
	v_cndmask_b32_e32 v2, -1, v2, vcc
	s_mov_b32 s3, 0x20000
	s_mov_b32 s2, -2
	s_mov_b32 s0, s20
	s_mov_b32 s1, s21
	v_readfirstlane_b32 s4, v7
	s_mov_b32 s5, 0xffff
	v_mul_u32_u24_e32 v11, 0x140, v5
	s_mov_b32 s6, 0xbb9c
	s_mov_b32 s7, 0x3333334
	v_lshlrev_b32_e32 v3, 2, v3
	buffer_load_dword v7, v2, s[0:3], s4 offen
	v_add_u32_e32 v2, 25, v5
	v_mul_lo_u32 v2, s24, v2
	v_add_lshl_u32 v2, v6, v2, 2
	v_cndmask_b32_e32 v2, -1, v2, vcc
	buffer_load_dword v8, v2, s[0:3], s4 offen
	v_add_u32_e32 v2, 50, v5
	v_mul_lo_u32 v2, s24, v2
	v_add_lshl_u32 v2, v6, v2, 2
	v_cndmask_b32_e32 v2, -1, v2, vcc
	;; [unrolled: 5-line block ×4, first 2 shown]
	buffer_load_dword v6, v2, s[0:3], s4 offen
	s_movk_i32 s0, 0x3b9c
	s_movk_i32 s1, 0x38b4
	v_lshlrev_b32_e32 v2, 2, v4
	s_movk_i32 s4, 0x34f2
	v_add3_u32 v11, 0, v11, v2
	v_mul_lo_u32 v4, s18, v4
	s_waitcnt vmcnt(3)
	v_pk_add_f16 v12, v7, v8
	s_waitcnt vmcnt(2)
	v_pk_add_f16 v18, v8, v9 neg_lo:[0,1] neg_hi:[0,1]
	v_pk_add_f16 v12, v12, v9
	s_waitcnt vmcnt(1)
	v_pk_add_f16 v13, v9, v10
	v_pk_fma_f16 v13, v13, 0.5, v7 op_sel_hi:[1,0,1] neg_lo:[1,0,0] neg_hi:[1,0,0]
	v_pk_add_f16 v16, v9, v10 neg_lo:[0,1] neg_hi:[0,1]
	v_pk_mul_f16 v17, v16, s1 op_sel_hi:[1,0]
	v_pk_add_f16 v12, v12, v10
	s_waitcnt vmcnt(0)
	v_pk_add_f16 v14, v8, v6 neg_lo:[0,1] neg_hi:[0,1]
	v_pk_mul_f16 v15, v14, s0 op_sel_hi:[1,0]
	v_pk_add_f16 v19, v6, v10 neg_lo:[0,1] neg_hi:[0,1]
	v_pk_add_f16 v18, v18, v19
	v_pk_add_f16 v19, v13, v15 op_sel:[0,1] op_sel_hi:[1,0] neg_lo:[0,1] neg_hi:[0,1]
	v_pk_add_f16 v13, v13, v15 op_sel:[0,1] op_sel_hi:[1,0]
	v_pk_add_f16 v15, v19, v17 op_sel:[0,1] op_sel_hi:[1,0] neg_lo:[0,1] neg_hi:[0,1]
	v_pk_add_f16 v13, v13, v17 op_sel:[0,1] op_sel_hi:[1,0]
	v_bfi_b32 v17, s5, v15, v13
	v_pk_add_f16 v12, v12, v6
	v_pk_fma_f16 v17, v18, s4, v17 op_sel_hi:[1,0,1]
	ds_write2_b32 v11, v12, v17 offset1:16
	v_pk_add_f16 v12, v8, v6
	v_pk_add_f16 v8, v9, v8 neg_lo:[0,1] neg_hi:[0,1]
	v_pk_add_f16 v6, v10, v6 neg_lo:[0,1] neg_hi:[0,1]
	v_pk_fma_f16 v7, v12, 0.5, v7 op_sel_hi:[1,0,1] neg_lo:[1,0,0] neg_hi:[1,0,0]
	v_pk_add_f16 v6, v8, v6
	v_pk_mul_f16 v8, v16, s0 op_sel_hi:[1,0]
	v_pk_mul_f16 v9, v14, s1 op_sel_hi:[1,0]
	v_pk_add_f16 v10, v7, v8 op_sel:[0,1] op_sel_hi:[1,0]
	v_pk_add_f16 v7, v7, v8 op_sel:[0,1] op_sel_hi:[1,0] neg_lo:[0,1] neg_hi:[0,1]
	v_pk_add_f16 v8, v10, v9 op_sel:[0,1] op_sel_hi:[1,0] neg_lo:[0,1] neg_hi:[0,1]
	v_pk_add_f16 v7, v7, v9 op_sel:[0,1] op_sel_hi:[1,0]
	v_bfi_b32 v9, s5, v8, v7
	v_bfi_b32 v7, s5, v7, v8
	v_pk_fma_f16 v9, v6, s4, v9 op_sel_hi:[1,0,1]
	v_pk_fma_f16 v6, v6, s4, v7 op_sel_hi:[1,0,1]
	ds_write2_b32 v11, v9, v6 offset0:32 offset1:48
	v_bfi_b32 v6, s5, v13, v15
	s_mov_b32 s5, 0x33333334
	v_mul_hi_u32 v8, v5, s5
	v_pk_fma_f16 v6, v18, s4, v6 op_sel_hi:[1,0,1]
	ds_write_b32 v11, v6 offset:256
	v_lshlrev_b32_e32 v6, 8, v5
	v_mul_u32_u24_e32 v8, 5, v8
	v_sub_u32_e32 v8, v5, v8
	v_sub_u32_e32 v6, v11, v6
	v_lshlrev_b32_e32 v11, 4, v8
	s_waitcnt lgkmcnt(0)
	s_barrier
	ds_read_b32 v10, v6
	ds_read_u16 v7, v6 offset:2
	ds_read_b32 v9, v6 offset:1600
	ds_read_b32 v15, v6 offset:3200
	ds_read_b32 v16, v6 offset:4800
	ds_read_b32 v17, v6 offset:6400
	global_load_dwordx4 v[11:14], v11, s[8:9]
	s_waitcnt lgkmcnt(3)
	v_lshrrev_b32_e32 v18, 16, v9
	s_mov_b32 s5, 0xb8b4
	s_waitcnt vmcnt(0) lgkmcnt(0)
	s_barrier
	v_mul_f16_sdwa v19, v11, v18 dst_sel:DWORD dst_unused:UNUSED_PAD src0_sel:WORD_1 src1_sel:DWORD
	v_fma_f16 v19, v11, v9, v19
	v_mul_f16_sdwa v9, v11, v9 dst_sel:DWORD dst_unused:UNUSED_PAD src0_sel:WORD_1 src1_sel:DWORD
	v_fma_f16 v11, v11, v18, -v9
	v_lshrrev_b32_e32 v9, 16, v15
	v_mul_f16_sdwa v18, v12, v9 dst_sel:DWORD dst_unused:UNUSED_PAD src0_sel:WORD_1 src1_sel:DWORD
	v_fma_f16 v18, v12, v15, v18
	v_mul_f16_sdwa v15, v12, v15 dst_sel:DWORD dst_unused:UNUSED_PAD src0_sel:WORD_1 src1_sel:DWORD
	v_fma_f16 v12, v12, v9, -v15
	v_lshrrev_b32_e32 v9, 16, v16
	;; [unrolled: 5-line block ×3, first 2 shown]
	v_mul_f16_sdwa v16, v14, v9 dst_sel:DWORD dst_unused:UNUSED_PAD src0_sel:WORD_1 src1_sel:DWORD
	v_fma_f16 v16, v14, v17, v16
	v_mul_f16_sdwa v17, v14, v17 dst_sel:DWORD dst_unused:UNUSED_PAD src0_sel:WORD_1 src1_sel:DWORD
	v_fma_f16 v14, v14, v9, -v17
	v_add_f16_e32 v17, v18, v15
	v_fma_f16 v17, v17, -0.5, v10
	v_sub_f16_e32 v20, v11, v14
	v_fma_f16 v21, v20, s6, v17
	v_sub_f16_e32 v22, v12, v13
	v_sub_f16_e32 v23, v19, v18
	;; [unrolled: 1-line block ×3, first 2 shown]
	v_fma_f16 v17, v20, s0, v17
	v_fma_f16 v21, v22, s5, v21
	v_add_f16_e32 v23, v23, v24
	v_fma_f16 v17, v22, s1, v17
	v_add_f16_e32 v9, v19, v10
	v_fma_f16 v21, v23, s4, v21
	v_fma_f16 v17, v23, s4, v17
	v_add_f16_e32 v23, v19, v16
	v_add_f16_e32 v9, v9, v18
	v_fma_f16 v10, v23, -0.5, v10
	v_add_f16_e32 v9, v9, v15
	v_fma_f16 v23, v22, s0, v10
	v_fma_f16 v10, v22, s6, v10
	v_add_f16_e32 v22, v12, v13
	v_add_f16_e32 v9, v9, v16
	v_sub_f16_e32 v24, v18, v19
	v_sub_f16_e32 v25, v15, v16
	v_fma_f16 v22, v22, -0.5, v7
	v_sub_f16_e32 v16, v19, v16
	v_fma_f16 v23, v20, s5, v23
	v_add_f16_e32 v24, v24, v25
	v_fma_f16 v10, v20, s1, v10
	v_fma_f16 v19, v16, s0, v22
	v_sub_f16_e32 v15, v18, v15
	v_fma_f16 v23, v24, s4, v23
	v_fma_f16 v10, v24, s4, v10
	;; [unrolled: 1-line block ×3, first 2 shown]
	v_sub_f16_e32 v19, v11, v12
	v_sub_f16_e32 v24, v14, v13
	v_fma_f16 v22, v16, s6, v22
	v_add_f16_e32 v19, v19, v24
	v_fma_f16 v22, v15, s5, v22
	v_fma_f16 v18, v19, s4, v18
	;; [unrolled: 1-line block ×3, first 2 shown]
	v_add_f16_e32 v22, v11, v14
	v_add_f16_e32 v20, v7, v11
	v_fma_f16 v7, v22, -0.5, v7
	v_add_f16_e32 v20, v20, v12
	v_fma_f16 v22, v15, s6, v7
	v_sub_f16_e32 v11, v12, v11
	v_sub_f16_e32 v12, v13, v14
	v_fma_f16 v7, v15, s0, v7
	v_fma_f16 v22, v16, s1, v22
	v_add_f16_e32 v11, v11, v12
	v_fma_f16 v7, v16, s5, v7
	v_fma_f16 v12, v11, s4, v22
	v_fma_f16 v7, v11, s4, v7
	v_mul_hi_u32 v11, v0, s7
	v_add_f16_e32 v20, v20, v13
	v_add_f16_e32 v20, v20, v14
	v_pack_b32_f16 v7, v10, v7
	v_mul_u32_u24_e32 v11, 25, v11
	v_add_lshl_u32 v8, v11, v8, 6
	v_add3_u32 v2, 0, v8, v2
	v_pack_b32_f16 v8, v9, v20
	v_pack_b32_f16 v9, v21, v18
	ds_write2_b32 v2, v8, v9 offset1:80
	v_pack_b32_f16 v8, v23, v12
	ds_write2_b32 v2, v8, v7 offset0:160 offset1:240
	v_pack_b32_f16 v7, v17, v19
	s_mov_b32 s7, 0xa3d70a4
	ds_write_b32 v2, v7 offset:1280
	v_mul_hi_u32 v2, v5, s7
	s_waitcnt lgkmcnt(0)
	s_barrier
	v_mul_u32_u24_e32 v2, 25, v2
	v_sub_u32_e32 v2, v5, v2
	v_lshlrev_b32_e32 v5, 4, v2
	ds_read_b32 v9, v6
	ds_read_u16 v10, v6 offset:2
	ds_read_b32 v11, v6 offset:1600
	ds_read_b32 v12, v6 offset:3200
	;; [unrolled: 1-line block ×4, first 2 shown]
	global_load_dwordx4 v[5:8], v5, s[8:9] offset:80
	s_waitcnt lgkmcnt(3)
	v_lshrrev_b32_e32 v15, 16, v11
	v_mul_hi_u32_u24_e32 v0, 0xa3d70b, v0
	s_waitcnt vmcnt(0)
	v_mul_f16_sdwa v16, v5, v15 dst_sel:DWORD dst_unused:UNUSED_PAD src0_sel:WORD_1 src1_sel:DWORD
	v_fma_f16 v16, v5, v11, v16
	v_mul_f16_sdwa v11, v5, v11 dst_sel:DWORD dst_unused:UNUSED_PAD src0_sel:WORD_1 src1_sel:DWORD
	v_fma_f16 v11, v5, v15, -v11
	s_waitcnt lgkmcnt(2)
	v_lshrrev_b32_e32 v5, 16, v12
	v_mul_f16_sdwa v15, v6, v5 dst_sel:DWORD dst_unused:UNUSED_PAD src0_sel:WORD_1 src1_sel:DWORD
	v_fma_f16 v15, v6, v12, v15
	v_mul_f16_sdwa v12, v6, v12 dst_sel:DWORD dst_unused:UNUSED_PAD src0_sel:WORD_1 src1_sel:DWORD
	v_fma_f16 v12, v6, v5, -v12
	s_waitcnt lgkmcnt(1)
	v_lshrrev_b32_e32 v5, 16, v13
	;; [unrolled: 6-line block ×3, first 2 shown]
	v_mul_f16_sdwa v7, v8, v5 dst_sel:DWORD dst_unused:UNUSED_PAD src0_sel:WORD_1 src1_sel:DWORD
	v_fma_f16 v18, v8, v14, v7
	v_mul_f16_sdwa v7, v8, v14 dst_sel:DWORD dst_unused:UNUSED_PAD src0_sel:WORD_1 src1_sel:DWORD
	v_fma_f16 v8, v8, v5, -v7
	v_add_f16_e32 v5, v16, v9
	v_add_f16_e32 v5, v5, v15
	;; [unrolled: 1-line block ×5, first 2 shown]
	v_fma_f16 v5, v5, -0.5, v9
	v_sub_f16_e32 v7, v11, v8
	v_fma_f16 v13, v7, s6, v5
	v_sub_f16_e32 v14, v12, v17
	v_sub_f16_e32 v20, v16, v15
	;; [unrolled: 1-line block ×3, first 2 shown]
	v_fma_f16 v5, v7, s0, v5
	v_fma_f16 v13, v14, s5, v13
	v_add_f16_e32 v20, v20, v21
	v_fma_f16 v5, v14, s1, v5
	v_fma_f16 v13, v20, s4, v13
	;; [unrolled: 1-line block ×3, first 2 shown]
	v_add_f16_e32 v20, v16, v18
	v_fma_f16 v20, v20, -0.5, v9
	v_fma_f16 v9, v14, s0, v20
	v_fma_f16 v14, v14, s6, v20
	;; [unrolled: 1-line block ×4, first 2 shown]
	v_add_f16_e32 v14, v10, v11
	v_add_f16_e32 v14, v14, v12
	v_sub_f16_e32 v21, v15, v16
	v_sub_f16_e32 v22, v6, v18
	v_add_f16_e32 v14, v14, v17
	v_add_f16_e32 v21, v21, v22
	;; [unrolled: 1-line block ×4, first 2 shown]
	v_fma_f16 v9, v21, s4, v9
	v_fma_f16 v7, v21, s4, v7
	v_fma_f16 v21, v14, -0.5, v10
	v_sub_f16_e32 v16, v16, v18
	v_fma_f16 v14, v16, s0, v21
	v_sub_f16_e32 v15, v15, v6
	v_fma_f16 v6, v15, s1, v14
	v_sub_f16_e32 v14, v11, v12
	v_sub_f16_e32 v18, v8, v17
	v_add_f16_e32 v18, v14, v18
	v_fma_f16 v14, v18, s4, v6
	v_fma_f16 v6, v16, s6, v21
	;; [unrolled: 1-line block ×4, first 2 shown]
	v_add_f16_e32 v18, v11, v8
	v_fma_f16 v18, v18, -0.5, v10
	v_sub_f16_e32 v11, v12, v11
	v_sub_f16_e32 v8, v17, v8
	v_fma_f16 v10, v15, s6, v18
	v_add_f16_e32 v8, v11, v8
	v_fma_f16 v11, v15, s0, v18
	v_fma_f16 v10, v16, s1, v10
	;; [unrolled: 1-line block ×3, first 2 shown]
	v_mul_lo_u32 v16, v2, v1
	v_fma_f16 v10, v8, s4, v10
	v_fma_f16 v8, v8, s4, v11
	s_add_i32 s0, 0, 0x1f40
	v_and_b32_e32 v11, 31, v16
	v_lshrrev_b32_e32 v15, 3, v16
	v_lshl_add_u32 v11, v11, 2, 0
	v_and_b32_e32 v15, 0x7c, v15
	ds_read_b32 v11, v11 offset:8000
	v_add_u32_e32 v15, s0, v15
	ds_read_b32 v15, v15 offset:128
	s_mov_b32 s1, s23
	v_readfirstlane_b32 s4, v3
	s_waitcnt lgkmcnt(1)
	v_lshrrev_b32_e32 v12, 16, v11
	s_waitcnt lgkmcnt(0)
	v_mul_f16_sdwa v17, v12, v15 dst_sel:DWORD dst_unused:UNUSED_PAD src0_sel:DWORD src1_sel:WORD_1
	v_fma_f16 v17, v11, v15, -v17
	v_mul_f16_sdwa v11, v11, v15 dst_sel:DWORD dst_unused:UNUSED_PAD src0_sel:DWORD src1_sel:WORD_1
	v_fma_f16 v11, v12, v15, v11
	v_lshrrev_b32_e32 v12, 8, v16
	v_and_b32_e32 v12, 0x7c, v12
	v_add_u32_e32 v12, s0, v12
	ds_read_b32 v12, v12 offset:256
	s_waitcnt lgkmcnt(0)
	v_mul_f16_sdwa v15, v11, v12 dst_sel:DWORD dst_unused:UNUSED_PAD src0_sel:DWORD src1_sel:WORD_1
	v_fma_f16 v15, v12, v17, -v15
	v_mul_f16_sdwa v17, v17, v12 dst_sel:DWORD dst_unused:UNUSED_PAD src0_sel:DWORD src1_sel:WORD_1
	v_fma_f16 v12, v12, v11, v17
	v_mul_f16_e32 v11, v20, v12
	v_mul_f16_e32 v12, v19, v12
	v_fma_f16 v11, v19, v15, v11
	v_fma_f16 v12, v20, v15, -v12
	v_mul_lo_u32 v15, v1, 25
	v_add_u32_e32 v16, v16, v15
	v_and_b32_e32 v1, 31, v16
	v_lshrrev_b32_e32 v18, 3, v16
	v_lshl_add_u32 v1, v1, 2, 0
	v_and_b32_e32 v18, 0x7c, v18
	ds_read_b32 v1, v1 offset:8000
	v_add_u32_e32 v18, s0, v18
	ds_read_b32 v18, v18 offset:128
	s_waitcnt lgkmcnt(1)
	v_lshrrev_b32_e32 v17, 16, v1
	s_waitcnt lgkmcnt(0)
	v_mul_f16_sdwa v19, v17, v18 dst_sel:DWORD dst_unused:UNUSED_PAD src0_sel:DWORD src1_sel:WORD_1
	v_fma_f16 v19, v1, v18, -v19
	v_mul_f16_sdwa v1, v1, v18 dst_sel:DWORD dst_unused:UNUSED_PAD src0_sel:DWORD src1_sel:WORD_1
	v_fma_f16 v1, v17, v18, v1
	v_lshrrev_b32_e32 v17, 8, v16
	v_and_b32_e32 v17, 0x7c, v17
	v_add_u32_e32 v17, s0, v17
	ds_read_b32 v17, v17 offset:256
	s_waitcnt lgkmcnt(0)
	v_mul_f16_sdwa v18, v1, v17 dst_sel:DWORD dst_unused:UNUSED_PAD src0_sel:DWORD src1_sel:WORD_1
	v_fma_f16 v18, v17, v19, -v18
	v_mul_f16_sdwa v19, v19, v17 dst_sel:DWORD dst_unused:UNUSED_PAD src0_sel:DWORD src1_sel:WORD_1
	v_fma_f16 v17, v17, v1, v19
	v_mul_f16_e32 v1, v14, v17
	v_fma_f16 v1, v13, v18, v1
	v_mul_f16_e32 v13, v13, v17
	v_fma_f16 v13, v14, v18, -v13
	v_add_u32_e32 v14, v16, v15
	v_and_b32_e32 v16, 31, v14
	v_lshrrev_b32_e32 v18, 3, v14
	v_lshl_add_u32 v16, v16, 2, 0
	v_and_b32_e32 v18, 0x7c, v18
	ds_read_b32 v16, v16 offset:8000
	v_add_u32_e32 v18, s0, v18
	ds_read_b32 v18, v18 offset:128
	v_lshlrev_b32_e32 v3, 16, v13
	v_or_b32_sdwa v1, v3, v1 dst_sel:DWORD dst_unused:UNUSED_PAD src0_sel:DWORD src1_sel:WORD_0
	s_waitcnt lgkmcnt(1)
	v_lshrrev_b32_e32 v17, 16, v16
	s_waitcnt lgkmcnt(0)
	v_mul_f16_sdwa v19, v17, v18 dst_sel:DWORD dst_unused:UNUSED_PAD src0_sel:DWORD src1_sel:WORD_1
	v_fma_f16 v19, v16, v18, -v19
	v_mul_f16_sdwa v16, v16, v18 dst_sel:DWORD dst_unused:UNUSED_PAD src0_sel:DWORD src1_sel:WORD_1
	v_fma_f16 v16, v17, v18, v16
	v_lshrrev_b32_e32 v17, 8, v14
	v_and_b32_e32 v17, 0x7c, v17
	v_add_u32_e32 v17, s0, v17
	ds_read_b32 v17, v17 offset:256
	s_waitcnt lgkmcnt(0)
	v_mul_f16_sdwa v18, v16, v17 dst_sel:DWORD dst_unused:UNUSED_PAD src0_sel:DWORD src1_sel:WORD_1
	v_fma_f16 v18, v17, v19, -v18
	v_mul_f16_sdwa v19, v19, v17 dst_sel:DWORD dst_unused:UNUSED_PAD src0_sel:DWORD src1_sel:WORD_1
	v_fma_f16 v16, v17, v16, v19
	v_mul_f16_e32 v17, v10, v16
	v_fma_f16 v17, v9, v18, v17
	v_mul_f16_e32 v9, v9, v16
	v_fma_f16 v9, v10, v18, -v9
	v_add_u32_e32 v10, v14, v15
	v_and_b32_e32 v14, 31, v10
	v_lshrrev_b32_e32 v18, 3, v10
	v_lshl_add_u32 v14, v14, 2, 0
	v_and_b32_e32 v18, 0x7c, v18
	ds_read_b32 v14, v14 offset:8000
	v_add_u32_e32 v18, s0, v18
	ds_read_b32 v18, v18 offset:128
	s_waitcnt lgkmcnt(1)
	v_lshrrev_b32_e32 v16, 16, v14
	s_waitcnt lgkmcnt(0)
	v_mul_f16_sdwa v19, v16, v18 dst_sel:DWORD dst_unused:UNUSED_PAD src0_sel:DWORD src1_sel:WORD_1
	v_fma_f16 v19, v14, v18, -v19
	v_mul_f16_sdwa v14, v14, v18 dst_sel:DWORD dst_unused:UNUSED_PAD src0_sel:DWORD src1_sel:WORD_1
	v_fma_f16 v14, v16, v18, v14
	v_lshrrev_b32_e32 v16, 8, v10
	v_and_b32_e32 v16, 0x7c, v16
	v_add_u32_e32 v16, s0, v16
	ds_read_b32 v16, v16 offset:256
	s_waitcnt lgkmcnt(0)
	v_mul_f16_sdwa v18, v14, v16 dst_sel:DWORD dst_unused:UNUSED_PAD src0_sel:DWORD src1_sel:WORD_1
	v_fma_f16 v18, v16, v19, -v18
	v_mul_f16_sdwa v19, v19, v16 dst_sel:DWORD dst_unused:UNUSED_PAD src0_sel:DWORD src1_sel:WORD_1
	v_fma_f16 v14, v16, v14, v19
	v_mul_f16_e32 v16, v8, v14
	v_fma_f16 v16, v7, v18, v16
	v_mul_f16_e32 v7, v7, v14
	v_fma_f16 v7, v8, v18, -v7
	v_add_u32_e32 v8, v10, v15
	v_and_b32_e32 v10, 31, v8
	v_lshrrev_b32_e32 v15, 3, v8
	v_lshl_add_u32 v10, v10, 2, 0
	v_and_b32_e32 v15, 0x7c, v15
	ds_read_b32 v10, v10 offset:8000
	v_add_u32_e32 v15, s0, v15
	ds_read_b32 v15, v15 offset:128
	v_lshrrev_b32_e32 v8, 8, v8
	v_and_b32_e32 v8, 0x7c, v8
	v_add_u32_e32 v8, s0, v8
	ds_read_b32 v8, v8 offset:256
	s_waitcnt lgkmcnt(2)
	v_lshrrev_b32_e32 v14, 16, v10
	s_waitcnt lgkmcnt(1)
	v_mul_f16_sdwa v18, v14, v15 dst_sel:DWORD dst_unused:UNUSED_PAD src0_sel:DWORD src1_sel:WORD_1
	v_fma_f16 v18, v10, v15, -v18
	v_mul_f16_sdwa v10, v10, v15 dst_sel:DWORD dst_unused:UNUSED_PAD src0_sel:DWORD src1_sel:WORD_1
	s_movk_i32 s0, 0x7d
	v_fma_f16 v10, v14, v15, v10
	v_mad_u32_u24 v0, v0, s0, v2
	s_waitcnt lgkmcnt(0)
	v_mul_f16_sdwa v14, v10, v8 dst_sel:DWORD dst_unused:UNUSED_PAD src0_sel:DWORD src1_sel:WORD_1
	v_mul_f16_sdwa v15, v18, v8 dst_sel:DWORD dst_unused:UNUSED_PAD src0_sel:DWORD src1_sel:WORD_1
	v_mul_lo_u32 v2, s16, v0
	v_fma_f16 v14, v8, v18, -v14
	v_fma_f16 v8, v8, v10, v15
	v_mul_f16_e32 v10, v6, v8
	v_fma_f16 v10, v5, v14, v10
	v_mul_f16_e32 v5, v5, v8
	v_fma_f16 v5, v6, v14, -v5
	v_lshlrev_b32_e32 v6, 16, v12
	v_add_lshl_u32 v2, v4, v2, 2
	v_or_b32_sdwa v6, v6, v11 dst_sel:DWORD dst_unused:UNUSED_PAD src0_sel:DWORD src1_sel:WORD_0
	v_cndmask_b32_e32 v2, -1, v2, vcc
	s_mov_b32 s0, s22
	buffer_store_dword v6, v2, s[0:3], s4 offen
	v_add_u32_e32 v2, 25, v0
	v_mul_lo_u32 v2, s16, v2
	v_add_lshl_u32 v2, v4, v2, 2
	v_cndmask_b32_e32 v2, -1, v2, vcc
	buffer_store_dword v1, v2, s[0:3], s4 offen
	v_add_u32_e32 v1, 50, v0
	v_mul_lo_u32 v1, s16, v1
	v_lshlrev_b32_e32 v2, 16, v9
	v_or_b32_sdwa v2, v2, v17 dst_sel:DWORD dst_unused:UNUSED_PAD src0_sel:DWORD src1_sel:WORD_0
	v_add_lshl_u32 v1, v4, v1, 2
	v_cndmask_b32_e32 v1, -1, v1, vcc
	buffer_store_dword v2, v1, s[0:3], s4 offen
	v_add_u32_e32 v1, 0x4b, v0
	v_mul_lo_u32 v1, s16, v1
	v_add_u32_e32 v0, 0x64, v0
	v_mul_lo_u32 v0, s16, v0
	v_lshlrev_b32_e32 v2, 16, v7
	v_add_lshl_u32 v1, v4, v1, 2
	v_or_b32_sdwa v2, v2, v16 dst_sel:DWORD dst_unused:UNUSED_PAD src0_sel:DWORD src1_sel:WORD_0
	v_cndmask_b32_e32 v1, -1, v1, vcc
	buffer_store_dword v2, v1, s[0:3], s4 offen
	v_lshlrev_b32_e32 v1, 16, v5
	v_add_lshl_u32 v0, v4, v0, 2
	v_or_b32_sdwa v1, v1, v10 dst_sel:DWORD dst_unused:UNUSED_PAD src0_sel:DWORD src1_sel:WORD_0
	v_cndmask_b32_e32 v0, -1, v0, vcc
	buffer_store_dword v1, v0, s[0:3], s4 offen
	s_endpgm
	.section	.rodata,"a",@progbits
	.p2align	6, 0x0
	.amdhsa_kernel fft_rtc_back_len125_factors_5_5_5_wgs_400_tpt_25_half_op_CI_CI_sbcc_twdbase5_3step_dirReg_intrinsicReadWrite
		.amdhsa_group_segment_fixed_size 0
		.amdhsa_private_segment_fixed_size 0
		.amdhsa_kernarg_size 112
		.amdhsa_user_sgpr_count 6
		.amdhsa_user_sgpr_private_segment_buffer 1
		.amdhsa_user_sgpr_dispatch_ptr 0
		.amdhsa_user_sgpr_queue_ptr 0
		.amdhsa_user_sgpr_kernarg_segment_ptr 1
		.amdhsa_user_sgpr_dispatch_id 0
		.amdhsa_user_sgpr_flat_scratch_init 0
		.amdhsa_user_sgpr_private_segment_size 0
		.amdhsa_uses_dynamic_stack 0
		.amdhsa_system_sgpr_private_segment_wavefront_offset 0
		.amdhsa_system_sgpr_workgroup_id_x 1
		.amdhsa_system_sgpr_workgroup_id_y 0
		.amdhsa_system_sgpr_workgroup_id_z 0
		.amdhsa_system_sgpr_workgroup_info 0
		.amdhsa_system_vgpr_workitem_id 0
		.amdhsa_next_free_vgpr 26
		.amdhsa_next_free_sgpr 48
		.amdhsa_reserve_vcc 1
		.amdhsa_reserve_flat_scratch 0
		.amdhsa_float_round_mode_32 0
		.amdhsa_float_round_mode_16_64 0
		.amdhsa_float_denorm_mode_32 3
		.amdhsa_float_denorm_mode_16_64 3
		.amdhsa_dx10_clamp 1
		.amdhsa_ieee_mode 1
		.amdhsa_fp16_overflow 0
		.amdhsa_exception_fp_ieee_invalid_op 0
		.amdhsa_exception_fp_denorm_src 0
		.amdhsa_exception_fp_ieee_div_zero 0
		.amdhsa_exception_fp_ieee_overflow 0
		.amdhsa_exception_fp_ieee_underflow 0
		.amdhsa_exception_fp_ieee_inexact 0
		.amdhsa_exception_int_div_zero 0
	.end_amdhsa_kernel
	.text
.Lfunc_end0:
	.size	fft_rtc_back_len125_factors_5_5_5_wgs_400_tpt_25_half_op_CI_CI_sbcc_twdbase5_3step_dirReg_intrinsicReadWrite, .Lfunc_end0-fft_rtc_back_len125_factors_5_5_5_wgs_400_tpt_25_half_op_CI_CI_sbcc_twdbase5_3step_dirReg_intrinsicReadWrite
                                        ; -- End function
	.section	.AMDGPU.csdata,"",@progbits
; Kernel info:
; codeLenInByte = 4468
; NumSgprs: 52
; NumVgprs: 26
; ScratchSize: 0
; MemoryBound: 0
; FloatMode: 240
; IeeeMode: 1
; LDSByteSize: 0 bytes/workgroup (compile time only)
; SGPRBlocks: 6
; VGPRBlocks: 6
; NumSGPRsForWavesPerEU: 52
; NumVGPRsForWavesPerEU: 26
; Occupancy: 9
; WaveLimiterHint : 0
; COMPUTE_PGM_RSRC2:SCRATCH_EN: 0
; COMPUTE_PGM_RSRC2:USER_SGPR: 6
; COMPUTE_PGM_RSRC2:TRAP_HANDLER: 0
; COMPUTE_PGM_RSRC2:TGID_X_EN: 1
; COMPUTE_PGM_RSRC2:TGID_Y_EN: 0
; COMPUTE_PGM_RSRC2:TGID_Z_EN: 0
; COMPUTE_PGM_RSRC2:TIDIG_COMP_CNT: 0
	.type	__hip_cuid_bf165bad7561f250,@object ; @__hip_cuid_bf165bad7561f250
	.section	.bss,"aw",@nobits
	.globl	__hip_cuid_bf165bad7561f250
__hip_cuid_bf165bad7561f250:
	.byte	0                               ; 0x0
	.size	__hip_cuid_bf165bad7561f250, 1

	.ident	"AMD clang version 19.0.0git (https://github.com/RadeonOpenCompute/llvm-project roc-6.4.0 25133 c7fe45cf4b819c5991fe208aaa96edf142730f1d)"
	.section	".note.GNU-stack","",@progbits
	.addrsig
	.addrsig_sym __hip_cuid_bf165bad7561f250
	.amdgpu_metadata
---
amdhsa.kernels:
  - .args:
      - .actual_access:  read_only
        .address_space:  global
        .offset:         0
        .size:           8
        .value_kind:     global_buffer
      - .address_space:  global
        .offset:         8
        .size:           8
        .value_kind:     global_buffer
      - .offset:         16
        .size:           8
        .value_kind:     by_value
      - .actual_access:  read_only
        .address_space:  global
        .offset:         24
        .size:           8
        .value_kind:     global_buffer
      - .actual_access:  read_only
        .address_space:  global
        .offset:         32
        .size:           8
        .value_kind:     global_buffer
      - .actual_access:  read_only
        .address_space:  global
        .offset:         40
        .size:           8
        .value_kind:     global_buffer
      - .offset:         48
        .size:           8
        .value_kind:     by_value
      - .actual_access:  read_only
        .address_space:  global
        .offset:         56
        .size:           8
        .value_kind:     global_buffer
      - .actual_access:  read_only
        .address_space:  global
        .offset:         64
        .size:           8
        .value_kind:     global_buffer
      - .offset:         72
        .size:           4
        .value_kind:     by_value
      - .actual_access:  read_only
        .address_space:  global
        .offset:         80
        .size:           8
        .value_kind:     global_buffer
      - .actual_access:  read_only
        .address_space:  global
        .offset:         88
        .size:           8
        .value_kind:     global_buffer
      - .address_space:  global
        .offset:         96
        .size:           8
        .value_kind:     global_buffer
      - .address_space:  global
        .offset:         104
        .size:           8
        .value_kind:     global_buffer
    .group_segment_fixed_size: 0
    .kernarg_segment_align: 8
    .kernarg_segment_size: 112
    .language:       OpenCL C
    .language_version:
      - 2
      - 0
    .max_flat_workgroup_size: 400
    .name:           fft_rtc_back_len125_factors_5_5_5_wgs_400_tpt_25_half_op_CI_CI_sbcc_twdbase5_3step_dirReg_intrinsicReadWrite
    .private_segment_fixed_size: 0
    .sgpr_count:     52
    .sgpr_spill_count: 0
    .symbol:         fft_rtc_back_len125_factors_5_5_5_wgs_400_tpt_25_half_op_CI_CI_sbcc_twdbase5_3step_dirReg_intrinsicReadWrite.kd
    .uniform_work_group_size: 1
    .uses_dynamic_stack: false
    .vgpr_count:     26
    .vgpr_spill_count: 0
    .wavefront_size: 64
amdhsa.target:   amdgcn-amd-amdhsa--gfx906
amdhsa.version:
  - 1
  - 2
...

	.end_amdgpu_metadata
